;; amdgpu-corpus repo=ROCm/aiter kind=compiled arch=gfx1100 opt=O3
	.text
	.amdgcn_target "amdgcn-amd-amdhsa--gfx1100"
	.amdhsa_code_object_version 6
	.section	.text._ZN12_GLOBAL__N_112finfo_kernelEPf,"axG",@progbits,_ZN12_GLOBAL__N_112finfo_kernelEPf,comdat
	.globl	_ZN12_GLOBAL__N_112finfo_kernelEPf ; -- Begin function _ZN12_GLOBAL__N_112finfo_kernelEPf
	.p2align	8
	.type	_ZN12_GLOBAL__N_112finfo_kernelEPf,@function
_ZN12_GLOBAL__N_112finfo_kernelEPf:     ; @_ZN12_GLOBAL__N_112finfo_kernelEPf
; %bb.0:
	s_mov_b32 s2, exec_lo
	v_cmpx_eq_u32_e32 0, v0
	s_cbranch_execz .LBB0_2
; %bb.1:
	s_getpc_b64 s[2:3]
	s_add_u32 s2, s2, _ZN4opus5finfoIfE4bitsE@rel32@lo+4
	s_addc_u32 s3, s3, _ZN4opus5finfoIfE4bitsE@rel32@hi+12
	s_getpc_b64 s[4:5]
	s_add_u32 s4, s4, _ZN4opus5finfoIDF16_E4bitsE@rel32@lo+4
	s_addc_u32 s5, s5, _ZN4opus5finfoIDF16_E4bitsE@rel32@hi+12
	s_load_b32 s6, s[2:3], 0x0
	s_getpc_b64 s[2:3]
	s_add_u32 s2, s2, _ZN4opus5finfoItE4bitsE@rel32@lo+4
	s_addc_u32 s3, s3, _ZN4opus5finfoItE4bitsE@rel32@hi+12
	s_load_b32 s7, s[4:5], 0x0
	s_load_b32 s8, s[2:3], 0x0
	s_getpc_b64 s[2:3]
	s_add_u32 s2, s2, _ZN4opus5finfoIDB8_E4bitsE@rel32@lo+4
	s_addc_u32 s3, s3, _ZN4opus5finfoIDB8_E4bitsE@rel32@hi+12
	s_getpc_b64 s[4:5]
	s_add_u32 s4, s4, _ZN4opus5finfoIDU8_E4bitsE@rel32@lo+4
	s_addc_u32 s5, s5, _ZN4opus5finfoIDU8_E4bitsE@rel32@hi+12
	s_load_b64 s[0:1], s[0:1], 0x0
	s_load_b32 s10, s[4:5], 0x0
	s_load_b32 s9, s[2:3], 0x0
	s_getpc_b64 s[2:3]
	s_add_u32 s2, s2, _ZN4opus5finfoINS_5fp4_tEE4bitsE@rel32@lo+4
	s_addc_u32 s3, s3, _ZN4opus5finfoINS_5fp4_tEE4bitsE@rel32@hi+12
	s_getpc_b64 s[4:5]
	s_add_u32 s4, s4, _ZN4opus5finfoINS_6e8m0_tEE4bitsE@rel32@lo+4
	s_addc_u32 s5, s5, _ZN4opus5finfoINS_6e8m0_tEE4bitsE@rel32@hi+12
	s_load_b32 s2, s[2:3], 0x0
	s_load_b32 s3, s[4:5], 0x0
	v_dual_mov_b32 v24, 0 :: v_dual_mov_b32 v1, 0xff7fffff
	v_bfrev_b32_e32 v12, 44
	v_dual_mov_b32 v6, 0xc77fe000 :: v_dual_mov_b32 v19, 1.0
	v_mov_b32_e32 v0, 0x7f7fffff
	s_waitcnt lgkmcnt(0)
	v_dual_mov_b32 v2, 0x800000 :: v_dual_mov_b32 v3, s6
	v_mov_b32_e32 v4, 0x3a800000
	v_dual_mov_b32 v5, 0x477fe000 :: v_dual_mov_b32 v8, s7
	v_mov_b32_e32 v7, 0x38800000
	v_bfrev_b32_e32 v9, 60
	v_dual_mov_b32 v10, 0x7f7f0000 :: v_dual_mov_b32 v21, v19
	v_mov_b32_e32 v11, 0xff7f0000
	v_mov_b32_e32 v15, s10
	s_clause 0x3
	global_store_b32 v24, v12, s[0:1]
	global_store_b128 v24, v[0:3], s[0:1] offset:4
	global_store_b128 v24, v[4:7], s[0:1] offset:20
	global_store_b128 v24, v[8:11], s[0:1] offset:36
	v_dual_mov_b32 v3, s8 :: v_dual_mov_b32 v4, 0x3e000000
	v_mov_b32_e32 v1, s3
	v_dual_mov_b32 v5, 0x43e00000 :: v_dual_mov_b32 v16, 0.5
	v_mov_b32_e32 v23, 0x400000
	v_mov_b32_e32 v8, 0xc3e00000
	v_dual_mov_b32 v9, 0x3c800000 :: v_dual_mov_b32 v20, s2
	v_dual_mov_b32 v10, s9 :: v_dual_mov_b32 v11, 0x3e800000
	s_delay_alu instid0(VALU_DEP_4)
	v_mov_b32_e32 v0, v23
	v_mov_b32_e32 v12, 0x47600000
	v_dual_mov_b32 v13, 0xc7600000 :: v_dual_mov_b32 v14, v7
	v_mov_b32_e32 v17, 0x40c00000
	v_mov_b32_e32 v18, 0xc0c00000
	;; [unrolled: 1-line block ×3, first 2 shown]
	s_clause 0x5
	global_store_b128 v24, v[2:5], s[0:1] offset:52
	global_store_b128 v24, v[8:11], s[0:1] offset:68
	;; [unrolled: 1-line block ×5, first 2 shown]
	global_store_b64 v24, v[0:1], s[0:1] offset:132
.LBB0_2:
	s_nop 0
	s_sendmsg sendmsg(MSG_DEALLOC_VGPRS)
	s_endpgm
	.section	.rodata,"a",@progbits
	.p2align	6, 0x0
	.amdhsa_kernel _ZN12_GLOBAL__N_112finfo_kernelEPf
		.amdhsa_group_segment_fixed_size 0
		.amdhsa_private_segment_fixed_size 0
		.amdhsa_kernarg_size 8
		.amdhsa_user_sgpr_count 15
		.amdhsa_user_sgpr_dispatch_ptr 0
		.amdhsa_user_sgpr_queue_ptr 0
		.amdhsa_user_sgpr_kernarg_segment_ptr 1
		.amdhsa_user_sgpr_dispatch_id 0
		.amdhsa_user_sgpr_private_segment_size 0
		.amdhsa_wavefront_size32 1
		.amdhsa_uses_dynamic_stack 0
		.amdhsa_enable_private_segment 0
		.amdhsa_system_sgpr_workgroup_id_x 1
		.amdhsa_system_sgpr_workgroup_id_y 0
		.amdhsa_system_sgpr_workgroup_id_z 0
		.amdhsa_system_sgpr_workgroup_info 0
		.amdhsa_system_vgpr_workitem_id 0
		.amdhsa_next_free_vgpr 25
		.amdhsa_next_free_sgpr 11
		.amdhsa_reserve_vcc 0
		.amdhsa_float_round_mode_32 0
		.amdhsa_float_round_mode_16_64 0
		.amdhsa_float_denorm_mode_32 3
		.amdhsa_float_denorm_mode_16_64 3
		.amdhsa_dx10_clamp 1
		.amdhsa_ieee_mode 1
		.amdhsa_fp16_overflow 0
		.amdhsa_workgroup_processor_mode 1
		.amdhsa_memory_ordered 1
		.amdhsa_forward_progress 0
		.amdhsa_shared_vgpr_count 0
		.amdhsa_exception_fp_ieee_invalid_op 0
		.amdhsa_exception_fp_denorm_src 0
		.amdhsa_exception_fp_ieee_div_zero 0
		.amdhsa_exception_fp_ieee_overflow 0
		.amdhsa_exception_fp_ieee_underflow 0
		.amdhsa_exception_fp_ieee_inexact 0
		.amdhsa_exception_int_div_zero 0
	.end_amdhsa_kernel
	.section	.text._ZN12_GLOBAL__N_112finfo_kernelEPf,"axG",@progbits,_ZN12_GLOBAL__N_112finfo_kernelEPf,comdat
.Lfunc_end0:
	.size	_ZN12_GLOBAL__N_112finfo_kernelEPf, .Lfunc_end0-_ZN12_GLOBAL__N_112finfo_kernelEPf
                                        ; -- End function
	.section	.AMDGPU.csdata,"",@progbits
; Kernel info:
; codeLenInByte = 544
; NumSgprs: 11
; NumVgprs: 25
; ScratchSize: 0
; MemoryBound: 1
; FloatMode: 240
; IeeeMode: 1
; LDSByteSize: 0 bytes/workgroup (compile time only)
; SGPRBlocks: 1
; VGPRBlocks: 3
; NumSGPRsForWavesPerEU: 11
; NumVGPRsForWavesPerEU: 25
; Occupancy: 16
; WaveLimiterHint : 1
; COMPUTE_PGM_RSRC2:SCRATCH_EN: 0
; COMPUTE_PGM_RSRC2:USER_SGPR: 15
; COMPUTE_PGM_RSRC2:TRAP_HANDLER: 0
; COMPUTE_PGM_RSRC2:TGID_X_EN: 1
; COMPUTE_PGM_RSRC2:TGID_Y_EN: 0
; COMPUTE_PGM_RSRC2:TGID_Z_EN: 0
; COMPUTE_PGM_RSRC2:TIDIG_COMP_CNT: 0
	.text
	.p2alignl 7, 3214868480
	.fill 96, 4, 3214868480
	.protected	_ZN4opus5finfoIfE4bitsE ; @_ZN4opus5finfoIfE4bitsE
	.type	_ZN4opus5finfoIfE4bitsE,@object
	.section	.rodata._ZN4opus5finfoIfE4bitsE,"aG",@progbits,_ZN4opus5finfoIfE4bitsE,comdat
	.weak	_ZN4opus5finfoIfE4bitsE
	.p2align	2, 0x0
_ZN4opus5finfoIfE4bitsE:
	.long	32                              ; 0x20
	.size	_ZN4opus5finfoIfE4bitsE, 4

	.protected	_ZN4opus5finfoIDF16_E4bitsE ; @_ZN4opus5finfoIDF16_E4bitsE
	.type	_ZN4opus5finfoIDF16_E4bitsE,@object
	.section	.rodata._ZN4opus5finfoIDF16_E4bitsE,"aG",@progbits,_ZN4opus5finfoIDF16_E4bitsE,comdat
	.weak	_ZN4opus5finfoIDF16_E4bitsE
	.p2align	2, 0x0
_ZN4opus5finfoIDF16_E4bitsE:
	.long	16                              ; 0x10
	.size	_ZN4opus5finfoIDF16_E4bitsE, 4

	.protected	_ZN4opus5finfoItE4bitsE ; @_ZN4opus5finfoItE4bitsE
	.type	_ZN4opus5finfoItE4bitsE,@object
	.section	.rodata._ZN4opus5finfoItE4bitsE,"aG",@progbits,_ZN4opus5finfoItE4bitsE,comdat
	.weak	_ZN4opus5finfoItE4bitsE
	.p2align	2, 0x0
_ZN4opus5finfoItE4bitsE:
	.long	16                              ; 0x10
	.size	_ZN4opus5finfoItE4bitsE, 4

	.protected	_ZN4opus5finfoIDB8_E4bitsE ; @_ZN4opus5finfoIDB8_E4bitsE
	.type	_ZN4opus5finfoIDB8_E4bitsE,@object
	.section	.rodata._ZN4opus5finfoIDB8_E4bitsE,"aG",@progbits,_ZN4opus5finfoIDB8_E4bitsE,comdat
	.weak	_ZN4opus5finfoIDB8_E4bitsE
	.p2align	2, 0x0
_ZN4opus5finfoIDB8_E4bitsE:
	.long	8                               ; 0x8
	.size	_ZN4opus5finfoIDB8_E4bitsE, 4

	.protected	_ZN4opus5finfoIDU8_E4bitsE ; @_ZN4opus5finfoIDU8_E4bitsE
	.type	_ZN4opus5finfoIDU8_E4bitsE,@object
	.section	.rodata._ZN4opus5finfoIDU8_E4bitsE,"aG",@progbits,_ZN4opus5finfoIDU8_E4bitsE,comdat
	.weak	_ZN4opus5finfoIDU8_E4bitsE
	.p2align	2, 0x0
_ZN4opus5finfoIDU8_E4bitsE:
	.long	8                               ; 0x8
	.size	_ZN4opus5finfoIDU8_E4bitsE, 4

	.protected	_ZN4opus5finfoINS_5fp4_tEE4bitsE ; @_ZN4opus5finfoINS_5fp4_tEE4bitsE
	.type	_ZN4opus5finfoINS_5fp4_tEE4bitsE,@object
	.section	.rodata._ZN4opus5finfoINS_5fp4_tEE4bitsE,"aG",@progbits,_ZN4opus5finfoINS_5fp4_tEE4bitsE,comdat
	.weak	_ZN4opus5finfoINS_5fp4_tEE4bitsE
	.p2align	2, 0x0
_ZN4opus5finfoINS_5fp4_tEE4bitsE:
	.long	4                               ; 0x4
	.size	_ZN4opus5finfoINS_5fp4_tEE4bitsE, 4

	.protected	_ZN4opus5finfoINS_6e8m0_tEE4bitsE ; @_ZN4opus5finfoINS_6e8m0_tEE4bitsE
	.type	_ZN4opus5finfoINS_6e8m0_tEE4bitsE,@object
	.section	.rodata._ZN4opus5finfoINS_6e8m0_tEE4bitsE,"aG",@progbits,_ZN4opus5finfoINS_6e8m0_tEE4bitsE,comdat
	.weak	_ZN4opus5finfoINS_6e8m0_tEE4bitsE
	.p2align	2, 0x0
_ZN4opus5finfoINS_6e8m0_tEE4bitsE:
	.long	8                               ; 0x8
	.size	_ZN4opus5finfoINS_6e8m0_tEE4bitsE, 4

	.type	__hip_cuid_5da9bc9fd3aea537,@object ; @__hip_cuid_5da9bc9fd3aea537
	.section	.bss,"aw",@nobits
	.globl	__hip_cuid_5da9bc9fd3aea537
__hip_cuid_5da9bc9fd3aea537:
	.byte	0                               ; 0x0
	.size	__hip_cuid_5da9bc9fd3aea537, 1

	.ident	"AMD clang version 19.0.0git (https://github.com/RadeonOpenCompute/llvm-project roc-6.4.0 25133 c7fe45cf4b819c5991fe208aaa96edf142730f1d)"
	.section	".note.GNU-stack","",@progbits
	.addrsig
	.addrsig_sym __hip_cuid_5da9bc9fd3aea537
	.amdgpu_metadata
---
amdhsa.kernels:
  - .args:
      - .address_space:  global
        .offset:         0
        .size:           8
        .value_kind:     global_buffer
    .group_segment_fixed_size: 0
    .kernarg_segment_align: 8
    .kernarg_segment_size: 8
    .language:       OpenCL C
    .language_version:
      - 2
      - 0
    .max_flat_workgroup_size: 1024
    .name:           _ZN12_GLOBAL__N_112finfo_kernelEPf
    .private_segment_fixed_size: 0
    .sgpr_count:     11
    .sgpr_spill_count: 0
    .symbol:         _ZN12_GLOBAL__N_112finfo_kernelEPf.kd
    .uniform_work_group_size: 1
    .uses_dynamic_stack: false
    .vgpr_count:     25
    .vgpr_spill_count: 0
    .wavefront_size: 32
    .workgroup_processor_mode: 1
amdhsa.target:   amdgcn-amd-amdhsa--gfx1100
amdhsa.version:
  - 1
  - 2
...

	.end_amdgpu_metadata
